;; amdgpu-corpus repo=ROCm/rocFFT kind=compiled arch=gfx1030 opt=O3
	.text
	.amdgcn_target "amdgcn-amd-amdhsa--gfx1030"
	.amdhsa_code_object_version 6
	.protected	bluestein_single_fwd_len700_dim1_dp_op_CI_CI ; -- Begin function bluestein_single_fwd_len700_dim1_dp_op_CI_CI
	.globl	bluestein_single_fwd_len700_dim1_dp_op_CI_CI
	.p2align	8
	.type	bluestein_single_fwd_len700_dim1_dp_op_CI_CI,@function
bluestein_single_fwd_len700_dim1_dp_op_CI_CI: ; @bluestein_single_fwd_len700_dim1_dp_op_CI_CI
; %bb.0:
	s_load_dwordx4 s[0:3], s[4:5], 0x28
	v_mul_u32_u24_e32 v1, 0x290, v0
	v_mov_b32_e32 v113, 0
	v_lshrrev_b32_e32 v1, 16, v1
	v_add_nc_u32_e32 v112, s6, v1
	s_waitcnt lgkmcnt(0)
	v_cmp_gt_u64_e32 vcc_lo, s[0:1], v[112:113]
	s_and_saveexec_b32 s0, vcc_lo
	s_cbranch_execz .LBB0_23
; %bb.1:
	s_clause 0x1
	s_load_dwordx2 s[14:15], s[4:5], 0x0
	s_load_dwordx2 s[12:13], s[4:5], 0x38
	v_mul_lo_u16 v1, 0x64, v1
	v_sub_nc_u16 v0, v0, v1
	v_and_b32_e32 v170, 0xffff, v0
	v_cmp_gt_u16_e32 vcc_lo, 0x46, v0
	v_lshlrev_b32_e32 v169, 4, v170
	s_and_saveexec_b32 s1, vcc_lo
	s_cbranch_execz .LBB0_3
; %bb.2:
	s_load_dwordx2 s[6:7], s[4:5], 0x18
	s_waitcnt lgkmcnt(0)
	v_add_co_u32 v17, s0, s14, v169
	v_add_co_ci_u32_e64 v18, null, s15, 0, s0
	s_load_dwordx4 s[8:11], s[6:7], 0x0
	s_clause 0x1
	global_load_dwordx4 v[0:3], v169, s[14:15]
	global_load_dwordx4 v[4:7], v169, s[14:15] offset:1120
	s_waitcnt lgkmcnt(0)
	v_mad_u64_u32 v[8:9], null, s10, v112, 0
	v_mad_u64_u32 v[10:11], null, s8, v170, 0
	s_mul_i32 s6, s9, 0x460
	s_mul_hi_u32 s7, s8, 0x460
	s_add_i32 s7, s7, s6
	v_mad_u64_u32 v[12:13], null, s11, v112, v[9:10]
	v_add_co_u32 v13, s0, 0x800, v17
	v_add_co_ci_u32_e64 v14, s0, 0, v18, s0
	v_add_co_u32 v20, s0, 0x1000, v17
	v_mad_u64_u32 v[15:16], null, s9, v170, v[11:12]
	v_mov_b32_e32 v9, v12
	v_add_co_ci_u32_e64 v21, s0, 0, v18, s0
	v_add_co_u32 v28, s0, 0x1800, v17
	v_lshlrev_b64 v[8:9], 4, v[8:9]
	v_mov_b32_e32 v11, v15
	v_add_co_ci_u32_e64 v29, s0, 0, v18, s0
	v_add_co_u32 v72, s0, 0x2000, v17
	v_add_co_ci_u32_e64 v73, s0, 0, v18, s0
	v_lshlrev_b64 v[10:11], 4, v[10:11]
	v_add_co_u32 v8, s0, s2, v8
	v_add_co_ci_u32_e64 v9, s0, s3, v9, s0
	s_mul_i32 s2, s8, 0x460
	v_add_co_u32 v32, s0, v8, v10
	v_add_co_ci_u32_e64 v33, s0, v9, v11, s0
	s_clause 0x1
	global_load_dwordx4 v[8:11], v[13:14], off offset:192
	global_load_dwordx4 v[12:15], v[13:14], off offset:1312
	v_add_co_u32 v36, s0, v32, s2
	v_add_co_ci_u32_e64 v37, s0, s7, v33, s0
	s_clause 0x1
	global_load_dwordx4 v[16:19], v[20:21], off offset:384
	global_load_dwordx4 v[20:23], v[20:21], off offset:1504
	;; [unrolled: 5-line block ×3, first 2 shown]
	v_add_co_u32 v44, s0, v40, s2
	v_add_co_ci_u32_e64 v45, s0, s7, v41, s0
	s_clause 0x1
	global_load_dwordx4 v[32:35], v[32:33], off
	global_load_dwordx4 v[36:39], v[36:37], off
	v_add_co_u32 v48, s0, v44, s2
	v_add_co_ci_u32_e64 v49, s0, s7, v45, s0
	global_load_dwordx4 v[40:43], v[40:41], off
	v_add_co_u32 v52, s0, v48, s2
	v_add_co_ci_u32_e64 v53, s0, s7, v49, s0
	s_clause 0x1
	global_load_dwordx4 v[44:47], v[44:45], off
	global_load_dwordx4 v[48:51], v[48:49], off
	v_add_co_u32 v56, s0, v52, s2
	v_add_co_ci_u32_e64 v57, s0, s7, v53, s0
	global_load_dwordx4 v[52:55], v[52:53], off
	v_add_co_u32 v60, s0, v56, s2
	v_add_co_ci_u32_e64 v61, s0, s7, v57, s0
	;; [unrolled: 3-line block ×3, first 2 shown]
	v_add_co_u32 v76, s0, v64, s2
	v_add_co_ci_u32_e64 v77, s0, s7, v65, s0
	global_load_dwordx4 v[60:63], v[60:61], off
	global_load_dwordx4 v[64:67], v[64:65], off
	s_clause 0x1
	global_load_dwordx4 v[68:71], v[72:73], off offset:768
	global_load_dwordx4 v[72:75], v[72:73], off offset:1888
	global_load_dwordx4 v[76:79], v[76:77], off
	s_waitcnt vmcnt(11)
	v_mul_f64 v[80:81], v[34:35], v[2:3]
	v_mul_f64 v[2:3], v[32:33], v[2:3]
	s_waitcnt vmcnt(10)
	v_mul_f64 v[82:83], v[38:39], v[6:7]
	v_mul_f64 v[6:7], v[36:37], v[6:7]
	;; [unrolled: 3-line block ×10, first 2 shown]
	v_fma_f64 v[30:31], v[32:33], v[0:1], v[80:81]
	v_fma_f64 v[32:33], v[34:35], v[0:1], -v[2:3]
	v_fma_f64 v[0:1], v[36:37], v[4:5], v[82:83]
	v_fma_f64 v[2:3], v[38:39], v[4:5], -v[6:7]
	;; [unrolled: 2-line block ×10, first 2 shown]
	ds_write_b128 v169, v[30:33]
	ds_write_b128 v169, v[0:3] offset:1120
	ds_write_b128 v169, v[4:7] offset:2240
	;; [unrolled: 1-line block ×9, first 2 shown]
.LBB0_3:
	s_or_b32 exec_lo, exec_lo, s1
	s_clause 0x1
	s_load_dwordx2 s[2:3], s[4:5], 0x20
	s_load_dwordx2 s[0:1], s[4:5], 0x8
	s_waitcnt lgkmcnt(0)
	s_barrier
	buffer_gl0_inv
                                        ; implicit-def: $vgpr0_vgpr1
                                        ; implicit-def: $vgpr4_vgpr5
                                        ; implicit-def: $vgpr8_vgpr9
                                        ; implicit-def: $vgpr12_vgpr13
                                        ; implicit-def: $vgpr16_vgpr17
                                        ; implicit-def: $vgpr20_vgpr21
                                        ; implicit-def: $vgpr24_vgpr25
                                        ; implicit-def: $vgpr28_vgpr29
                                        ; implicit-def: $vgpr32_vgpr33
                                        ; implicit-def: $vgpr36_vgpr37
	s_and_saveexec_b32 s4, vcc_lo
	s_cbranch_execz .LBB0_5
; %bb.4:
	ds_read_b128 v[0:3], v169
	ds_read_b128 v[4:7], v169 offset:1120
	ds_read_b128 v[8:11], v169 offset:2240
	;; [unrolled: 1-line block ×9, first 2 shown]
.LBB0_5:
	s_or_b32 exec_lo, exec_lo, s4
	s_waitcnt lgkmcnt(0)
	v_add_f64 v[42:43], v[14:15], v[38:39]
	v_add_f64 v[46:47], v[12:13], v[36:37]
	;; [unrolled: 1-line block ×4, first 2 shown]
	v_add_f64 v[44:45], v[22:23], -v[30:31]
	v_add_f64 v[40:41], v[20:21], -v[28:29]
	;; [unrolled: 1-line block ×4, first 2 shown]
	s_mov_b32 s4, 0x134454ff
	s_mov_b32 s5, 0x3fee6f0e
	;; [unrolled: 1-line block ×4, first 2 shown]
	v_add_f64 v[60:61], v[8:9], v[32:33]
	v_add_f64 v[62:63], v[12:13], -v[20:21]
	v_add_f64 v[64:65], v[36:37], -v[28:29]
	v_add_f64 v[66:67], v[10:11], v[34:35]
	v_add_f64 v[68:69], v[20:21], -v[12:13]
	v_add_f64 v[70:71], v[28:29], -v[36:37]
	;; [unrolled: 1-line block ×6, first 2 shown]
	v_fma_f64 v[56:57], v[42:43], -0.5, v[6:7]
	v_fma_f64 v[58:59], v[46:47], -0.5, v[4:5]
	v_fma_f64 v[46:47], v[52:53], -0.5, v[4:5]
	v_fma_f64 v[42:43], v[54:55], -0.5, v[6:7]
	v_add_f64 v[82:83], v[16:17], v[24:25]
	v_add_f64 v[86:87], v[18:19], v[26:27]
	s_mov_b32 s6, 0x4755a5e
	s_mov_b32 s7, 0x3fe2cf23
	;; [unrolled: 1-line block ×4, first 2 shown]
	v_add_f64 v[52:53], v[18:19], -v[26:27]
	v_add_f64 v[54:55], v[16:17], -v[24:25]
	;; [unrolled: 1-line block ×3, first 2 shown]
	v_fma_f64 v[60:61], v[60:61], -0.5, v[0:1]
	v_add_f64 v[88:89], v[62:63], v[64:65]
	v_fma_f64 v[62:63], v[66:67], -0.5, v[2:3]
	s_mov_b32 s10, 0x372fe950
	v_add_f64 v[64:65], v[68:69], v[70:71]
	s_mov_b32 s11, 0x3fd3c6ef
	v_add_f64 v[76:77], v[72:73], v[74:75]
	v_add_f64 v[106:107], v[26:27], -v[34:35]
	v_add_f64 v[66:67], v[78:79], v[80:81]
	v_fma_f64 v[90:91], v[40:41], s[4:5], v[56:57]
	v_fma_f64 v[92:93], v[44:45], s[16:17], v[58:59]
	;; [unrolled: 1-line block ×6, first 2 shown]
	v_add_f64 v[56:57], v[10:11], -v[34:35]
	v_fma_f64 v[58:59], v[82:83], -0.5, v[0:1]
	v_fma_f64 v[74:75], v[86:87], -0.5, v[2:3]
	v_add_f64 v[86:87], v[8:9], -v[16:17]
	s_mov_b32 s8, 0x9b97f4a8
	s_mov_b32 s9, 0x3fe9e377
	v_mul_lo_u16 v171, v170, 10
	v_fma_f64 v[108:109], v[52:53], s[16:17], v[60:61]
	v_fma_f64 v[60:61], v[52:53], s[4:5], v[60:61]
	v_fma_f64 v[110:111], v[54:55], s[4:5], v[62:63]
	v_fma_f64 v[62:63], v[54:55], s[16:17], v[62:63]
	s_barrier
	buffer_gl0_inv
	v_fma_f64 v[68:69], v[48:49], s[18:19], v[90:91]
	v_fma_f64 v[70:71], v[50:51], s[6:7], v[92:93]
	;; [unrolled: 1-line block ×6, first 2 shown]
	v_add_f64 v[90:91], v[32:33], -v[24:25]
	v_add_f64 v[92:93], v[16:17], -v[8:9]
	;; [unrolled: 1-line block ×6, first 2 shown]
	v_fma_f64 v[113:114], v[56:57], s[16:17], v[58:59]
	v_fma_f64 v[115:116], v[84:85], s[4:5], v[74:75]
	;; [unrolled: 1-line block ×10, first 2 shown]
	v_add_f64 v[102:103], v[86:87], v[90:91]
	v_fma_f64 v[72:73], v[56:57], s[6:7], v[108:109]
	v_add_f64 v[78:79], v[92:93], v[94:95]
	v_fma_f64 v[82:83], v[84:85], s[18:19], v[110:111]
	v_add_f64 v[104:105], v[96:97], v[98:99]
	v_add_f64 v[80:81], v[100:101], v[106:107]
	v_fma_f64 v[86:87], v[52:53], s[18:19], v[113:114]
	v_fma_f64 v[90:91], v[54:55], s[6:7], v[115:116]
	v_mul_f64 v[96:97], v[68:69], s[4:5]
	v_mul_f64 v[100:101], v[70:71], s[16:17]
	;; [unrolled: 1-line block ×6, first 2 shown]
	v_fma_f64 v[72:73], v[78:79], s[10:11], v[72:73]
	v_fma_f64 v[78:79], v[78:79], s[10:11], v[60:61]
	;; [unrolled: 1-line block ×8, first 2 shown]
	v_fma_f64 v[86:87], v[66:67], s[4:5], -v[106:107]
	v_fma_f64 v[100:101], v[64:65], s[16:17], -v[108:109]
	;; [unrolled: 1-line block ×4, first 2 shown]
	v_add_f64 v[64:65], v[72:73], -v[80:81]
	v_add_f64 v[66:67], v[92:93], -v[96:97]
	;; [unrolled: 1-line block ×6, first 2 shown]
	s_and_saveexec_b32 s16, vcc_lo
	s_cbranch_execz .LBB0_7
; %bb.6:
	v_mul_f64 v[50:51], v[50:51], s[4:5]
	v_mul_f64 v[44:45], v[44:45], s[6:7]
	v_mul_f64 v[48:49], v[48:49], s[4:5]
	v_add_f64 v[2:3], v[2:3], v[10:11]
	v_add_f64 v[0:1], v[0:1], v[8:9]
	;; [unrolled: 1-line block ×4, first 2 shown]
	v_mul_f64 v[8:9], v[84:85], s[4:5]
	v_mul_f64 v[10:11], v[88:89], s[10:11]
	;; [unrolled: 1-line block ×3, first 2 shown]
	v_add_f64 v[46:47], v[46:47], v[50:51]
	v_add_f64 v[14:15], v[42:43], -v[48:49]
	v_mul_f64 v[42:43], v[56:57], s[4:5]
	v_add_f64 v[2:3], v[2:3], v[18:19]
	v_add_f64 v[6:7], v[6:7], v[22:23]
	;; [unrolled: 1-line block ×4, first 2 shown]
	v_mul_f64 v[48:49], v[76:77], s[10:11]
	v_add_f64 v[8:9], v[74:75], -v[8:9]
	v_mul_f64 v[16:17], v[102:103], s[10:11]
	v_mul_f64 v[18:19], v[104:105], s[10:11]
	v_add_f64 v[40:41], v[44:45], v[46:47]
	v_mul_f64 v[44:45], v[52:53], s[6:7]
	v_mul_f64 v[46:47], v[54:55], s[6:7]
	v_add_f64 v[12:13], v[14:15], -v[12:13]
	v_add_f64 v[14:15], v[58:59], v[42:43]
	v_add_f64 v[2:3], v[2:3], v[26:27]
	;; [unrolled: 1-line block ×6, first 2 shown]
	v_add_f64 v[8:9], v[8:9], -v[46:47]
	v_add_f64 v[12:13], v[48:49], v[12:13]
	v_add_f64 v[14:15], v[44:45], v[14:15]
	;; [unrolled: 1-line block ×10, first 2 shown]
	v_mul_f64 v[20:21], v[10:11], s[6:7]
	v_mul_f64 v[10:11], v[10:11], s[8:9]
	v_add_f64 v[30:31], v[18:19], v[8:9]
	v_add_f64 v[8:9], v[72:73], v[80:81]
	;; [unrolled: 1-line block ×4, first 2 shown]
	v_add_f64 v[14:15], v[22:23], -v[24:25]
	v_add_f64 v[16:17], v[26:27], v[28:29]
	v_fma_f64 v[20:21], v[12:13], s[8:9], -v[20:21]
	v_fma_f64 v[34:35], v[12:13], s[6:7], v[10:11]
	v_add_f64 v[10:11], v[92:93], v[96:97]
	v_add_f64 v[12:13], v[26:27], -v[28:29]
	v_mov_b32_e32 v28, 4
	v_lshlrev_b32_sdwa v28, v28, v171 dst_sel:DWORD dst_unused:UNUSED_PAD src0_sel:DWORD src1_sel:WORD_0
	v_add_f64 v[26:27], v[30:31], v[20:21]
	v_add_f64 v[24:25], v[32:33], v[34:35]
	v_add_f64 v[22:23], v[30:31], -v[20:21]
	v_add_f64 v[20:21], v[32:33], -v[34:35]
	ds_write_b128 v28, v[64:67] offset:112
	ds_write_b128 v28, v[60:63] offset:128
	;; [unrolled: 1-line block ×5, first 2 shown]
	ds_write_b128 v28, v[16:19]
	ds_write_b128 v28, v[12:15] offset:80
	ds_write_b128 v28, v[24:27] offset:16
	;; [unrolled: 1-line block ×4, first 2 shown]
.LBB0_7:
	s_or_b32 exec_lo, exec_lo, s16
	v_and_b32_e32 v0, 0xff, v170
	s_load_dwordx4 s[4:7], s[2:3], 0x0
	s_waitcnt lgkmcnt(0)
	s_barrier
	buffer_gl0_inv
	v_mul_lo_u16 v0, 0xcd, v0
	s_mov_b32 s2, 0x37e14327
	s_mov_b32 s3, 0x3fe948f6
	;; [unrolled: 1-line block ×4, first 2 shown]
	v_lshrrev_b16 v100, 11, v0
	s_mov_b32 s9, 0x3fac98ee
	s_mov_b32 s11, 0xbfe11646
	;; [unrolled: 1-line block ×4, first 2 shown]
	v_mul_lo_u16 v0, v100, 10
	s_mov_b32 s19, 0x3fd5d0dc
	s_mov_b32 s18, 0xb247c609
	v_sub_nc_u16 v0, v170, v0
	v_and_b32_e32 v101, 0xff, v0
	v_mul_u32_u24_e32 v0, 6, v101
	v_lshlrev_b32_e32 v8, 4, v0
	s_clause 0x5
	global_load_dwordx4 v[4:7], v8, s[0:1]
	global_load_dwordx4 v[0:3], v8, s[0:1] offset:16
	global_load_dwordx4 v[12:15], v8, s[0:1] offset:80
	;; [unrolled: 1-line block ×5, first 2 shown]
	ds_read_b128 v[8:11], v169 offset:1600
	ds_read_b128 v[28:31], v169 offset:3200
	ds_read_b128 v[32:35], v169 offset:9600
	ds_read_b128 v[36:39], v169 offset:8000
	ds_read_b128 v[40:43], v169 offset:4800
	ds_read_b128 v[44:47], v169 offset:6400
	s_waitcnt vmcnt(5) lgkmcnt(5)
	v_mul_f64 v[48:49], v[10:11], v[6:7]
	v_mul_f64 v[50:51], v[8:9], v[6:7]
	s_waitcnt vmcnt(4) lgkmcnt(4)
	v_mul_f64 v[52:53], v[30:31], v[2:3]
	v_mul_f64 v[54:55], v[28:29], v[2:3]
	;; [unrolled: 3-line block ×6, first 2 shown]
	v_fma_f64 v[8:9], v[8:9], v[4:5], -v[48:49]
	v_fma_f64 v[10:11], v[10:11], v[4:5], v[50:51]
	v_fma_f64 v[28:29], v[28:29], v[0:1], -v[52:53]
	v_fma_f64 v[30:31], v[30:31], v[0:1], v[54:55]
	;; [unrolled: 2-line block ×6, first 2 shown]
	v_add_f64 v[48:49], v[8:9], v[32:33]
	v_add_f64 v[50:51], v[10:11], v[34:35]
	;; [unrolled: 1-line block ×4, first 2 shown]
	v_add_f64 v[28:29], v[28:29], -v[36:37]
	v_add_f64 v[30:31], v[30:31], -v[38:39]
	v_add_f64 v[56:57], v[40:41], v[44:45]
	v_add_f64 v[58:59], v[42:43], v[46:47]
	v_add_f64 v[36:37], v[44:45], -v[40:41]
	v_add_f64 v[38:39], v[46:47], -v[42:43]
	;; [unrolled: 1-line block ×4, first 2 shown]
	ds_read_b128 v[8:11], v169
	s_waitcnt lgkmcnt(0)
	s_barrier
	buffer_gl0_inv
	v_add_f64 v[40:41], v[52:53], v[48:49]
	v_add_f64 v[42:43], v[54:55], v[50:51]
	v_add_f64 v[44:45], v[48:49], -v[56:57]
	v_add_f64 v[46:47], v[50:51], -v[58:59]
	;; [unrolled: 1-line block ×10, first 2 shown]
	v_add_f64 v[28:29], v[36:37], v[28:29]
	v_add_f64 v[30:31], v[38:39], v[30:31]
	v_add_f64 v[36:37], v[32:33], -v[36:37]
	v_add_f64 v[38:39], v[34:35], -v[38:39]
	v_add_f64 v[40:41], v[56:57], v[40:41]
	v_add_f64 v[42:43], v[58:59], v[42:43]
	v_mul_f64 v[44:45], v[44:45], s[2:3]
	v_mul_f64 v[46:47], v[46:47], s[2:3]
	s_mov_b32 s2, 0x429ad128
	v_mul_f64 v[52:53], v[76:77], s[8:9]
	v_mul_f64 v[54:55], v[78:79], s[8:9]
	;; [unrolled: 1-line block ×4, first 2 shown]
	s_mov_b32 s3, 0x3febfeb5
	s_mov_b32 s10, 0xaaaaaaaa
	v_mul_f64 v[84:85], v[80:81], s[2:3]
	v_mul_f64 v[86:87], v[82:83], s[2:3]
	s_mov_b32 s11, 0xbff2aaaa
	v_add_f64 v[72:73], v[8:9], v[40:41]
	v_add_f64 v[74:75], v[10:11], v[42:43]
	;; [unrolled: 1-line block ×4, first 2 shown]
	v_fma_f64 v[28:29], v[76:77], s[8:9], v[44:45]
	v_fma_f64 v[30:31], v[78:79], s[8:9], v[46:47]
	v_fma_f64 v[32:33], v[48:49], s[16:17], -v[52:53]
	v_fma_f64 v[34:35], v[50:51], s[16:17], -v[54:55]
	s_mov_b32 s17, 0xbfe77f67
	v_fma_f64 v[52:53], v[36:37], s[18:19], v[56:57]
	v_fma_f64 v[54:55], v[38:39], s[18:19], v[58:59]
	s_mov_b32 s19, 0xbfd5d0dc
	v_fma_f64 v[56:57], v[80:81], s[2:3], -v[56:57]
	v_fma_f64 v[58:59], v[82:83], s[2:3], -v[58:59]
	;; [unrolled: 1-line block ×6, first 2 shown]
	s_mov_b32 s2, 0x37c3f68c
	s_mov_b32 s3, 0x3fdc38aa
	v_fma_f64 v[40:41], v[40:41], s[10:11], v[72:73]
	v_fma_f64 v[42:43], v[42:43], s[10:11], v[74:75]
	;; [unrolled: 1-line block ×8, first 2 shown]
	v_add_f64 v[28:29], v[28:29], v[40:41]
	v_add_f64 v[30:31], v[30:31], v[42:43]
	;; [unrolled: 1-line block ×7, first 2 shown]
	v_add_f64 v[78:79], v[30:31], -v[48:49]
	v_add_f64 v[84:85], v[10:11], v[36:37]
	v_add_f64 v[86:87], v[38:39], -v[8:9]
	v_add_f64 v[88:89], v[32:33], -v[54:55]
	v_add_f64 v[90:91], v[52:53], v[34:35]
	v_add_f64 v[92:93], v[54:55], v[32:33]
	v_add_f64 v[94:95], v[34:35], -v[52:53]
	v_add_f64 v[96:97], v[36:37], -v[10:11]
	v_add_f64 v[98:99], v[8:9], v[38:39]
	v_add_f64 v[80:81], v[28:29], -v[50:51]
	v_add_f64 v[82:83], v[48:49], v[30:31]
	v_mov_b32_e32 v8, 0x46
	v_mul_u32_u24_sdwa v8, v100, v8 dst_sel:DWORD dst_unused:UNUSED_PAD src0_sel:WORD_0 src1_sel:DWORD
	v_add_lshl_u32 v172, v8, v101, 4
	ds_write_b128 v172, v[72:75]
	ds_write_b128 v172, v[76:79] offset:160
	ds_write_b128 v172, v[84:87] offset:320
	;; [unrolled: 1-line block ×6, first 2 shown]
	s_waitcnt lgkmcnt(0)
	s_barrier
	buffer_gl0_inv
	s_and_saveexec_b32 s2, vcc_lo
	s_cbranch_execz .LBB0_9
; %bb.8:
	ds_read_b128 v[72:75], v169
	ds_read_b128 v[76:79], v169 offset:1120
	ds_read_b128 v[84:87], v169 offset:2240
	;; [unrolled: 1-line block ×9, first 2 shown]
.LBB0_9:
	s_or_b32 exec_lo, exec_lo, s2
	v_add_nc_u32_e32 v8, 0xffffffba, v170
	s_mov_b32 s9, 0xbfee6f0e
	s_mov_b32 s16, 0x4755a5e
	;; [unrolled: 1-line block ×4, first 2 shown]
	v_cndmask_b32_e32 v8, v8, v170, vcc_lo
	s_mov_b32 s10, s16
	s_mov_b32 s2, 0x372fe950
	;; [unrolled: 1-line block ×4, first 2 shown]
	v_mul_i32_i24_e32 v9, 0x90, v8
	v_mul_hi_i32_i24_e32 v8, 0x90, v8
	s_mov_b32 s19, 0x3fe9e377
	v_add_co_u32 v48, s0, s0, v9
	v_add_co_ci_u32_e64 v49, s0, s1, v8, s0
	s_mov_b32 s0, 0x134454ff
	s_mov_b32 s1, 0x3fee6f0e
	;; [unrolled: 1-line block ×3, first 2 shown]
	s_clause 0x8
	global_load_dwordx4 v[36:39], v[48:49], off offset:1024
	global_load_dwordx4 v[44:47], v[48:49], off offset:992
	;; [unrolled: 1-line block ×9, first 2 shown]
	s_waitcnt vmcnt(8) lgkmcnt(4)
	v_mul_f64 v[100:101], v[98:99], v[38:39]
	s_waitcnt vmcnt(7)
	v_mul_f64 v[102:103], v[90:91], v[46:47]
	v_mul_f64 v[104:105], v[88:89], v[46:47]
	;; [unrolled: 1-line block ×3, first 2 shown]
	s_waitcnt vmcnt(6) lgkmcnt(2)
	v_mul_f64 v[108:109], v[64:65], v[42:43]
	s_waitcnt vmcnt(5) lgkmcnt(0)
	v_mul_f64 v[110:111], v[68:69], v[54:55]
	v_mul_f64 v[113:114], v[70:71], v[54:55]
	;; [unrolled: 1-line block ×3, first 2 shown]
	s_waitcnt vmcnt(4)
	v_mul_f64 v[117:118], v[78:79], v[10:11]
	v_mul_f64 v[119:120], v[76:77], v[10:11]
	s_waitcnt vmcnt(3)
	v_mul_f64 v[121:122], v[86:87], v[58:59]
	v_mul_f64 v[123:124], v[84:85], v[58:59]
	;; [unrolled: 3-line block ×3, first 2 shown]
	s_waitcnt vmcnt(1)
	v_mul_f64 v[129:130], v[82:83], v[34:35]
	s_waitcnt vmcnt(0)
	v_mul_f64 v[131:132], v[62:63], v[50:51]
	v_mul_f64 v[133:134], v[80:81], v[34:35]
	;; [unrolled: 1-line block ×3, first 2 shown]
	v_fma_f64 v[96:97], v[96:97], v[36:37], -v[100:101]
	v_fma_f64 v[88:89], v[88:89], v[44:45], -v[102:103]
	v_fma_f64 v[90:91], v[90:91], v[44:45], v[104:105]
	v_fma_f64 v[98:99], v[98:99], v[36:37], v[106:107]
	;; [unrolled: 1-line block ×4, first 2 shown]
	v_fma_f64 v[68:69], v[68:69], v[52:53], -v[113:114]
	v_fma_f64 v[64:65], v[64:65], v[40:41], -v[115:116]
	;; [unrolled: 1-line block ×3, first 2 shown]
	v_fma_f64 v[78:79], v[78:79], v[8:9], v[119:120]
	v_fma_f64 v[84:85], v[84:85], v[56:57], -v[121:122]
	v_fma_f64 v[86:87], v[86:87], v[56:57], v[123:124]
	v_fma_f64 v[92:93], v[92:93], v[28:29], -v[125:126]
	;; [unrolled: 2-line block ×3, first 2 shown]
	v_fma_f64 v[60:61], v[60:61], v[48:49], -v[131:132]
	v_fma_f64 v[82:83], v[82:83], v[32:33], v[133:134]
	v_fma_f64 v[62:63], v[62:63], v[48:49], v[135:136]
	v_add_f64 v[125:126], v[88:89], -v[96:97]
	v_add_f64 v[131:132], v[96:97], -v[88:89]
	v_add_f64 v[137:138], v[90:91], -v[98:99]
	v_add_f64 v[100:101], v[98:99], v[66:67]
	v_add_f64 v[102:103], v[90:91], v[70:71]
	;; [unrolled: 1-line block ×4, first 2 shown]
	v_add_f64 v[108:109], v[90:91], -v[70:71]
	v_add_f64 v[119:120], v[98:99], -v[66:67]
	v_add_f64 v[121:122], v[88:89], -v[68:69]
	v_add_f64 v[123:124], v[96:97], -v[64:65]
	v_add_f64 v[127:128], v[68:69], -v[64:65]
	v_add_f64 v[133:134], v[64:65], -v[68:69]
	v_add_f64 v[110:111], v[92:93], v[80:81]
	v_add_f64 v[113:114], v[84:85], v[60:61]
	;; [unrolled: 1-line block ×4, first 2 shown]
	v_add_f64 v[139:140], v[70:71], -v[66:67]
	v_add_f64 v[141:142], v[98:99], -v[90:91]
	;; [unrolled: 1-line block ×3, first 2 shown]
	v_add_f64 v[129:130], v[72:73], v[84:85]
	v_add_f64 v[135:136], v[84:85], -v[92:93]
	v_add_f64 v[145:146], v[92:93], -v[84:85]
	;; [unrolled: 1-line block ×4, first 2 shown]
	v_fma_f64 v[100:101], v[100:101], -0.5, v[78:79]
	v_fma_f64 v[102:103], v[102:103], -0.5, v[78:79]
	;; [unrolled: 1-line block ×4, first 2 shown]
	v_add_f64 v[76:77], v[76:77], v[88:89]
	v_add_f64 v[88:89], v[74:75], v[86:87]
	;; [unrolled: 1-line block ×3, first 2 shown]
	v_add_f64 v[84:85], v[84:85], -v[60:61]
	v_add_f64 v[161:162], v[92:93], -v[80:81]
	;; [unrolled: 1-line block ×3, first 2 shown]
	v_fma_f64 v[110:111], v[110:111], -0.5, v[72:73]
	v_fma_f64 v[72:73], v[113:114], -0.5, v[72:73]
	;; [unrolled: 1-line block ×4, first 2 shown]
	v_add_f64 v[115:116], v[125:126], v[127:128]
	v_add_f64 v[117:118], v[131:132], v[133:134]
	;; [unrolled: 1-line block ×4, first 2 shown]
	v_add_f64 v[147:148], v[80:81], -v[60:61]
	v_add_f64 v[163:164], v[86:87], -v[94:95]
	;; [unrolled: 1-line block ×4, first 2 shown]
	v_fma_f64 v[153:154], v[121:122], s[8:9], v[100:101]
	v_fma_f64 v[155:156], v[123:124], s[0:1], v[102:103]
	;; [unrolled: 1-line block ×8, first 2 shown]
	v_add_f64 v[167:168], v[82:83], -v[62:63]
	v_add_f64 v[92:93], v[129:130], v[92:93]
	v_add_f64 v[88:89], v[88:89], v[94:95]
	;; [unrolled: 1-line block ×4, first 2 shown]
	v_fma_f64 v[94:95], v[149:150], s[0:1], v[110:111]
	v_fma_f64 v[96:97], v[149:150], s[8:9], v[110:111]
	;; [unrolled: 1-line block ×6, first 2 shown]
	v_add_f64 v[90:91], v[135:136], v[90:91]
	v_fma_f64 v[131:132], v[123:124], s[10:11], v[153:154]
	v_fma_f64 v[133:134], v[121:122], s[10:11], v[155:156]
	;; [unrolled: 1-line block ×10, first 2 shown]
	v_add_f64 v[108:109], v[145:146], v[147:148]
	v_add_f64 v[86:87], v[86:87], v[167:168]
	;; [unrolled: 1-line block ×6, first 2 shown]
	v_fma_f64 v[76:77], v[151:152], s[16:17], v[94:95]
	v_fma_f64 v[78:79], v[151:152], s[10:11], v[96:97]
	;; [unrolled: 1-line block ×14, first 2 shown]
	v_add_f64 v[115:116], v[163:164], v[165:166]
	v_fma_f64 v[96:97], v[84:85], s[10:11], v[119:120]
	v_fma_f64 v[74:75], v[84:85], s[16:17], v[74:75]
	v_add_f64 v[80:81], v[80:81], v[60:61]
	v_add_f64 v[82:83], v[82:83], v[62:63]
	;; [unrolled: 1-line block ×4, first 2 shown]
	v_fma_f64 v[133:134], v[90:91], s[2:3], v[76:77]
	v_fma_f64 v[90:91], v[90:91], s[2:3], v[78:79]
	;; [unrolled: 1-line block ×4, first 2 shown]
	v_mul_f64 v[84:85], v[121:122], s[16:17]
	v_mul_f64 v[98:99], v[123:124], s[0:1]
	;; [unrolled: 1-line block ×8, first 2 shown]
	v_fma_f64 v[135:136], v[115:116], s[2:3], v[92:93]
	v_fma_f64 v[115:116], v[115:116], s[2:3], v[94:95]
	;; [unrolled: 1-line block ×4, first 2 shown]
	v_add_f64 v[60:61], v[80:81], v[64:65]
	v_add_f64 v[62:63], v[82:83], v[66:67]
	v_add_f64 v[80:81], v[80:81], -v[64:65]
	v_add_f64 v[82:83], v[82:83], -v[66:67]
	v_fma_f64 v[84:85], v[106:107], s[18:19], v[84:85]
	v_fma_f64 v[86:87], v[104:105], s[2:3], v[98:99]
	v_fma_f64 v[92:93], v[102:103], s[0:1], -v[110:111]
	v_fma_f64 v[96:97], v[100:101], s[16:17], -v[113:114]
	v_fma_f64 v[98:99], v[121:122], s[18:19], v[117:118]
	v_fma_f64 v[100:101], v[123:124], s[2:3], v[119:120]
	v_fma_f64 v[102:103], v[129:130], s[8:9], -v[125:126]
	v_fma_f64 v[104:105], v[131:132], s[10:11], -v[127:128]
	v_add_f64 v[64:65], v[133:134], v[84:85]
	v_add_f64 v[68:69], v[88:89], v[86:87]
	;; [unrolled: 1-line block ×8, first 2 shown]
	v_add_f64 v[84:85], v[133:134], -v[84:85]
	v_add_f64 v[88:89], v[88:89], -v[86:87]
	;; [unrolled: 1-line block ×8, first 2 shown]
	s_and_saveexec_b32 s0, vcc_lo
	s_cbranch_execz .LBB0_11
; %bb.10:
	ds_write_b128 v169, v[60:63]
	ds_write_b128 v169, v[64:67] offset:1120
	ds_write_b128 v169, v[68:71] offset:2240
	;; [unrolled: 1-line block ×9, first 2 shown]
.LBB0_11:
	s_or_b32 exec_lo, exec_lo, s0
	s_waitcnt lgkmcnt(0)
	s_barrier
	buffer_gl0_inv
	s_and_saveexec_b32 s1, vcc_lo
	s_cbranch_execz .LBB0_13
; %bb.12:
	v_add_co_u32 v129, s0, s14, v169
	v_add_co_ci_u32_e64 v130, null, s15, 0, s0
	v_add_co_u32 v104, s0, 0x2bc0, v129
	v_add_co_ci_u32_e64 v105, s0, 0, v130, s0
	v_add_co_u32 v100, s0, 0x2800, v129
	v_add_co_ci_u32_e64 v101, s0, 0, v130, s0
	;; [unrolled: 2-line block ×6, first 2 shown]
	v_add_co_u32 v137, s0, 0x5000, v129
	s_clause 0x6
	global_load_dwordx4 v[100:103], v[100:101], off offset:960
	global_load_dwordx4 v[104:107], v[104:105], off offset:1120
	;; [unrolled: 1-line block ×7, first 2 shown]
	v_add_co_ci_u32_e64 v138, s0, 0, v130, s0
	s_clause 0x2
	global_load_dwordx4 v[129:132], v[133:134], off offset:608
	global_load_dwordx4 v[133:136], v[133:134], off offset:1728
	;; [unrolled: 1-line block ×3, first 2 shown]
	ds_read_b128 v[141:144], v169
	ds_read_b128 v[145:148], v169 offset:1120
	ds_read_b128 v[149:152], v169 offset:2240
	;; [unrolled: 1-line block ×9, first 2 shown]
	s_waitcnt vmcnt(9) lgkmcnt(9)
	v_mul_f64 v[185:186], v[143:144], v[102:103]
	v_mul_f64 v[102:103], v[141:142], v[102:103]
	s_waitcnt vmcnt(8) lgkmcnt(8)
	v_mul_f64 v[187:188], v[147:148], v[106:107]
	v_mul_f64 v[106:107], v[145:146], v[106:107]
	;; [unrolled: 3-line block ×10, first 2 shown]
	v_fma_f64 v[139:140], v[141:142], v[100:101], -v[185:186]
	v_fma_f64 v[141:142], v[143:144], v[100:101], v[102:103]
	v_fma_f64 v[100:101], v[145:146], v[104:105], -v[187:188]
	v_fma_f64 v[102:103], v[147:148], v[104:105], v[106:107]
	;; [unrolled: 2-line block ×10, first 2 shown]
	ds_write_b128 v169, v[139:142]
	ds_write_b128 v169, v[100:103] offset:1120
	ds_write_b128 v169, v[104:107] offset:2240
	;; [unrolled: 1-line block ×9, first 2 shown]
.LBB0_13:
	s_or_b32 exec_lo, exec_lo, s1
	s_waitcnt lgkmcnt(0)
	s_barrier
	buffer_gl0_inv
	s_and_saveexec_b32 s0, vcc_lo
	s_cbranch_execz .LBB0_15
; %bb.14:
	ds_read_b128 v[60:63], v169
	ds_read_b128 v[64:67], v169 offset:1120
	ds_read_b128 v[68:71], v169 offset:2240
	;; [unrolled: 1-line block ×9, first 2 shown]
.LBB0_15:
	s_or_b32 exec_lo, exec_lo, s0
	s_waitcnt lgkmcnt(0)
	v_add_f64 v[100:101], v[74:75], v[98:99]
	v_add_f64 v[102:103], v[82:83], v[90:91]
	;; [unrolled: 1-line block ×4, first 2 shown]
	v_add_f64 v[127:128], v[80:81], -v[88:89]
	v_add_f64 v[133:134], v[72:73], -v[96:97]
	s_mov_b32 s2, 0x134454ff
	s_mov_b32 s3, 0x3fee6f0e
	s_mov_b32 s17, 0xbfee6f0e
	s_mov_b32 s16, s2
	v_add_f64 v[108:109], v[76:77], v[84:85]
	v_add_f64 v[110:111], v[78:79], v[86:87]
	;; [unrolled: 1-line block ×3, first 2 shown]
	v_add_f64 v[149:150], v[74:75], -v[98:99]
	v_add_f64 v[145:146], v[82:83], -v[90:91]
	;; [unrolled: 1-line block ×6, first 2 shown]
	s_mov_b32 s0, 0x4755a5e
	s_mov_b32 s1, 0x3fe2cf23
	;; [unrolled: 1-line block ×3, first 2 shown]
	v_fma_f64 v[100:101], v[100:101], -0.5, v[66:67]
	v_fma_f64 v[123:124], v[102:103], -0.5, v[66:67]
	v_add_f64 v[102:103], v[68:69], v[92:93]
	v_fma_f64 v[147:148], v[104:105], -0.5, v[64:65]
	v_fma_f64 v[104:105], v[106:107], -0.5, v[64:65]
	s_mov_b32 s18, s0
	v_add_f64 v[125:126], v[70:71], -v[94:95]
	v_add_f64 v[113:114], v[78:79], -v[86:87]
	;; [unrolled: 1-line block ×8, first 2 shown]
	v_fma_f64 v[117:118], v[108:109], -0.5, v[60:61]
	v_fma_f64 v[119:120], v[110:111], -0.5, v[62:63]
	;; [unrolled: 1-line block ×3, first 2 shown]
	v_add_f64 v[129:130], v[131:132], v[135:136]
	v_add_f64 v[110:111], v[137:138], v[139:140]
	s_mov_b32 s8, 0x372fe950
	s_mov_b32 s9, 0x3fd3c6ef
	v_add_f64 v[143:144], v[68:69], -v[76:77]
	v_fma_f64 v[106:107], v[127:128], s[16:17], v[100:101]
	v_fma_f64 v[100:101], v[127:128], s[2:3], v[100:101]
	;; [unrolled: 1-line block ×3, first 2 shown]
	v_fma_f64 v[102:103], v[102:103], -0.5, v[60:61]
	v_fma_f64 v[131:132], v[149:150], s[2:3], v[147:148]
	v_fma_f64 v[135:136], v[145:146], s[2:3], v[104:105]
	;; [unrolled: 1-line block ×3, first 2 shown]
	v_add_f64 v[151:152], v[92:93], -v[84:85]
	v_add_f64 v[139:140], v[76:77], -v[68:69]
	;; [unrolled: 1-line block ×7, first 2 shown]
	s_mov_b32 s21, 0xbfd3c6ef
	v_fma_f64 v[177:178], v[121:122], s[16:17], v[119:120]
	v_fma_f64 v[179:180], v[115:116], s[16:17], v[108:109]
	v_fma_f64 v[108:109], v[115:116], s[2:3], v[108:109]
	s_mov_b32 s11, 0xbfe9e377
	s_mov_b32 s10, 0x9b97f4a8
	;; [unrolled: 1-line block ×3, first 2 shown]
	v_fma_f64 v[106:107], v[133:134], s[0:1], v[106:107]
	v_fma_f64 v[100:101], v[133:134], s[18:19], v[100:101]
	;; [unrolled: 1-line block ×3, first 2 shown]
	v_add_f64 v[141:142], v[153:154], v[155:156]
	v_add_f64 v[155:156], v[157:158], v[159:160]
	v_fma_f64 v[159:160], v[125:126], s[2:3], v[117:118]
	v_fma_f64 v[175:176], v[113:114], s[2:3], v[102:103]
	;; [unrolled: 1-line block ×6, first 2 shown]
	v_add_f64 v[157:158], v[143:144], v[151:152]
	v_add_f64 v[139:140], v[139:140], v[161:162]
	;; [unrolled: 1-line block ×4, first 2 shown]
	s_barrier
	v_fma_f64 v[163:164], v[121:122], s[0:1], v[179:180]
	v_fma_f64 v[108:109], v[121:122], s[18:19], v[108:109]
	buffer_gl0_inv
	v_fma_f64 v[106:107], v[110:111], s[8:9], v[106:107]
	v_fma_f64 v[100:101], v[110:111], s[8:9], v[100:101]
	;; [unrolled: 1-line block ×11, first 2 shown]
	v_mul_f64 v[173:174], v[106:107], s[16:17]
	v_mul_f64 v[175:176], v[100:101], s[16:17]
	;; [unrolled: 1-line block ×6, first 2 shown]
	v_fma_f64 v[137:138], v[157:158], s[8:9], v[137:138]
	v_fma_f64 v[131:132], v[139:140], s[8:9], v[151:152]
	;; [unrolled: 1-line block ×11, first 2 shown]
	v_add_f64 v[104:105], v[131:132], -v[139:140]
	v_add_f64 v[100:101], v[135:136], -v[143:144]
	;; [unrolled: 1-line block ×6, first 2 shown]
	s_and_saveexec_b32 s16, vcc_lo
	s_cbranch_execz .LBB0_17
; %bb.16:
	v_mul_f64 v[149:150], v[149:150], s[2:3]
	v_mul_f64 v[133:134], v[133:134], s[2:3]
	;; [unrolled: 1-line block ×4, first 2 shown]
	v_add_f64 v[62:63], v[62:63], v[70:71]
	v_add_f64 v[66:67], v[66:67], v[74:75]
	v_add_f64 v[60:61], v[60:61], v[68:69]
	v_add_f64 v[64:65], v[64:65], v[72:73]
	v_mul_f64 v[125:126], v[125:126], s[2:3]
	v_mul_f64 v[68:69], v[121:122], s[2:3]
	v_mul_f64 v[70:71], v[141:142], s[8:9]
	v_mul_f64 v[74:75], v[129:130], s[8:9]
	v_mul_f64 v[113:114], v[113:114], s[0:1]
	s_mov_b32 s11, 0x3fe9e377
	v_add_f64 v[147:148], v[147:148], -v[149:150]
	v_add_f64 v[123:124], v[123:124], v[133:134]
	v_add_f64 v[62:63], v[62:63], v[78:79]
	;; [unrolled: 1-line block ×5, first 2 shown]
	v_mul_f64 v[76:77], v[115:116], s[0:1]
	v_add_f64 v[68:69], v[119:120], v[68:69]
	v_mul_f64 v[78:79], v[157:158], s[8:9]
	v_mul_f64 v[80:81], v[153:154], s[8:9]
	v_add_f64 v[72:73], v[147:148], -v[145:146]
	v_add_f64 v[121:122], v[127:128], v[123:124]
	v_add_f64 v[62:63], v[62:63], v[86:87]
	;; [unrolled: 1-line block ×7, first 2 shown]
	v_add_f64 v[72:73], v[117:118], -v[125:126]
	v_add_f64 v[74:75], v[74:75], v[121:122]
	v_add_f64 v[84:85], v[62:63], v[94:95]
	;; [unrolled: 1-line block ×11, first 2 shown]
	v_mul_f64 v[76:77], v[70:71], s[0:1]
	v_add_f64 v[72:73], v[72:73], -v[113:114]
	v_mul_f64 v[82:83], v[74:75], s[0:1]
	v_fma_f64 v[92:93], v[74:75], s[10:11], v[76:77]
	v_add_f64 v[94:95], v[78:79], v[72:73]
	v_fma_f64 v[96:97], v[70:71], s[10:11], -v[82:83]
	v_add_f64 v[70:71], v[155:156], v[163:164]
	v_add_f64 v[78:79], v[84:85], v[86:87]
	;; [unrolled: 1-line block ×3, first 2 shown]
	v_add_f64 v[74:75], v[84:85], -v[86:87]
	v_add_f64 v[72:73], v[88:89], -v[90:91]
	v_mov_b32_e32 v88, 4
	v_lshlrev_b32_sdwa v88, v88, v171 dst_sel:DWORD dst_unused:UNUSED_PAD src0_sel:DWORD src1_sel:WORD_0
	v_add_f64 v[86:87], v[80:81], v[92:93]
	v_add_f64 v[82:83], v[80:81], -v[92:93]
	v_add_f64 v[84:85], v[94:95], v[96:97]
	v_add_f64 v[80:81], v[94:95], -v[96:97]
	ds_write_b128 v88, v[104:107] offset:112
	ds_write_b128 v88, v[100:103] offset:128
	;; [unrolled: 1-line block ×5, first 2 shown]
	ds_write_b128 v88, v[76:79]
	ds_write_b128 v88, v[72:75] offset:80
	ds_write_b128 v88, v[84:87] offset:16
	;; [unrolled: 1-line block ×4, first 2 shown]
.LBB0_17:
	s_or_b32 exec_lo, exec_lo, s16
	s_waitcnt lgkmcnt(0)
	s_barrier
	buffer_gl0_inv
	ds_read_b128 v[60:63], v169 offset:1600
	ds_read_b128 v[64:67], v169 offset:3200
	;; [unrolled: 1-line block ×6, first 2 shown]
	s_mov_b32 s0, 0x37e14327
	s_mov_b32 s1, 0x3fe948f6
	;; [unrolled: 1-line block ×10, first 2 shown]
	s_waitcnt lgkmcnt(5)
	v_mul_f64 v[84:85], v[6:7], v[62:63]
	v_mul_f64 v[6:7], v[6:7], v[60:61]
	s_waitcnt lgkmcnt(4)
	v_mul_f64 v[86:87], v[2:3], v[66:67]
	v_mul_f64 v[2:3], v[2:3], v[64:65]
	;; [unrolled: 3-line block ×6, first 2 shown]
	v_fma_f64 v[60:61], v[4:5], v[60:61], v[84:85]
	v_fma_f64 v[4:5], v[4:5], v[62:63], -v[6:7]
	v_fma_f64 v[6:7], v[0:1], v[64:65], v[86:87]
	v_fma_f64 v[0:1], v[0:1], v[66:67], -v[2:3]
	;; [unrolled: 2-line block ×6, first 2 shown]
	v_add_f64 v[18:19], v[60:61], v[2:3]
	v_add_f64 v[62:63], v[4:5], v[12:13]
	;; [unrolled: 1-line block ×4, first 2 shown]
	v_add_f64 v[6:7], v[6:7], -v[14:15]
	v_add_f64 v[14:15], v[0:1], -v[24:25]
	v_add_f64 v[68:69], v[26:27], v[22:23]
	v_add_f64 v[70:71], v[20:21], v[16:17]
	v_add_f64 v[22:23], v[22:23], -v[26:27]
	v_add_f64 v[16:17], v[16:17], -v[20:21]
	v_add_f64 v[20:21], v[60:61], -v[2:3]
	v_add_f64 v[4:5], v[4:5], -v[12:13]
	ds_read_b128 v[0:3], v169
	s_waitcnt lgkmcnt(0)
	s_barrier
	buffer_gl0_inv
	v_add_f64 v[12:13], v[64:65], v[18:19]
	v_add_f64 v[24:25], v[66:67], v[62:63]
	v_add_f64 v[26:27], v[18:19], -v[68:69]
	v_add_f64 v[60:61], v[62:63], -v[70:71]
	;; [unrolled: 1-line block ×10, first 2 shown]
	v_add_f64 v[6:7], v[22:23], v[6:7]
	v_add_f64 v[14:15], v[16:17], v[14:15]
	v_add_f64 v[22:23], v[20:21], -v[22:23]
	v_add_f64 v[16:17], v[4:5], -v[16:17]
	v_add_f64 v[12:13], v[68:69], v[12:13]
	v_add_f64 v[24:25], v[70:71], v[24:25]
	v_mul_f64 v[26:27], v[26:27], s[0:1]
	v_mul_f64 v[60:61], v[60:61], s[0:1]
	s_mov_b32 s0, 0x429ad128
	v_mul_f64 v[64:65], v[72:73], s[2:3]
	v_mul_f64 v[66:67], v[74:75], s[2:3]
	;; [unrolled: 1-line block ×4, first 2 shown]
	s_mov_b32 s1, 0xbfebfeb5
	s_mov_b32 s8, 0xaaaaaaaa
	v_mul_f64 v[76:77], v[80:81], s[0:1]
	v_mul_f64 v[78:79], v[82:83], s[0:1]
	s_mov_b32 s9, 0xbff2aaaa
	v_add_f64 v[6:7], v[6:7], v[20:21]
	v_add_f64 v[4:5], v[14:15], v[4:5]
	;; [unrolled: 1-line block ×4, first 2 shown]
	v_fma_f64 v[14:15], v[72:73], s[2:3], v[26:27]
	v_fma_f64 v[20:21], v[74:75], s[2:3], v[60:61]
	v_fma_f64 v[64:65], v[18:19], s[10:11], -v[64:65]
	v_fma_f64 v[66:67], v[62:63], s[10:11], -v[66:67]
	s_mov_b32 s11, 0xbfe77f67
	v_fma_f64 v[72:73], v[22:23], s[16:17], v[68:69]
	v_fma_f64 v[74:75], v[16:17], s[16:17], v[70:71]
	s_mov_b32 s17, 0x3fd5d0dc
	v_fma_f64 v[68:69], v[80:81], s[0:1], -v[68:69]
	v_fma_f64 v[70:71], v[82:83], s[0:1], -v[70:71]
	;; [unrolled: 1-line block ×6, first 2 shown]
	s_mov_b32 s0, 0x37c3f68c
	s_mov_b32 s1, 0xbfdc38aa
	v_fma_f64 v[12:13], v[12:13], s[8:9], v[0:1]
	v_fma_f64 v[24:25], v[24:25], s[8:9], v[2:3]
	;; [unrolled: 1-line block ×8, first 2 shown]
	v_add_f64 v[76:77], v[14:15], v[12:13]
	v_add_f64 v[78:79], v[20:21], v[24:25]
	;; [unrolled: 1-line block ×7, first 2 shown]
	v_add_f64 v[6:7], v[78:79], -v[72:73]
	v_add_f64 v[16:17], v[70:71], v[80:81]
	v_add_f64 v[18:19], v[26:27], -v[68:69]
	v_add_f64 v[20:21], v[12:13], -v[62:63]
	v_add_f64 v[22:23], v[60:61], v[14:15]
	v_add_f64 v[12:13], v[62:63], v[12:13]
	v_add_f64 v[14:15], v[14:15], -v[60:61]
	v_add_f64 v[60:61], v[80:81], -v[70:71]
	v_add_f64 v[62:63], v[68:69], v[26:27]
	v_add_f64 v[24:25], v[76:77], -v[74:75]
	v_add_f64 v[26:27], v[72:73], v[78:79]
	ds_write_b128 v172, v[0:3]
	ds_write_b128 v172, v[4:7] offset:160
	ds_write_b128 v172, v[16:19] offset:320
	;; [unrolled: 1-line block ×6, first 2 shown]
	s_waitcnt lgkmcnt(0)
	s_barrier
	buffer_gl0_inv
	s_and_saveexec_b32 s0, vcc_lo
	s_cbranch_execz .LBB0_19
; %bb.18:
	ds_read_b128 v[0:3], v169
	ds_read_b128 v[4:7], v169 offset:1120
	ds_read_b128 v[16:19], v169 offset:2240
	;; [unrolled: 1-line block ×9, first 2 shown]
.LBB0_19:
	s_or_b32 exec_lo, exec_lo, s0
	s_and_saveexec_b32 s24, vcc_lo
	s_cbranch_execz .LBB0_21
; %bb.20:
	s_waitcnt lgkmcnt(6)
	v_mul_f64 v[64:65], v[46:47], v[20:21]
	s_waitcnt lgkmcnt(4)
	v_mul_f64 v[66:67], v[38:39], v[60:61]
	;; [unrolled: 2-line block ×4, first 2 shown]
	v_mul_f64 v[46:47], v[46:47], v[22:23]
	v_mul_f64 v[38:39], v[38:39], v[62:63]
	v_mul_f64 v[54:55], v[54:55], v[110:111]
	v_mul_f64 v[42:43], v[42:43], v[106:107]
	v_mul_f64 v[80:81], v[10:11], v[4:5]
	v_mul_f64 v[72:73], v[58:59], v[16:17]
	v_mul_f64 v[74:75], v[30:31], v[12:13]
	v_mul_f64 v[76:77], v[50:51], v[100:101]
	v_mul_f64 v[78:79], v[34:35], v[24:25]
	v_mul_f64 v[58:59], v[58:59], v[18:19]
	v_mul_f64 v[50:51], v[50:51], v[102:103]
	v_mul_f64 v[30:31], v[30:31], v[14:15]
	v_mul_f64 v[34:35], v[34:35], v[26:27]
	v_mul_f64 v[10:11], v[10:11], v[6:7]
	s_mov_b32 s2, 0x134454ff
	s_mov_b32 s3, 0xbfee6f0e
	;; [unrolled: 1-line block ×4, first 2 shown]
	v_fma_f64 v[22:23], v[44:45], v[22:23], -v[64:65]
	v_fma_f64 v[62:63], v[36:37], v[62:63], -v[66:67]
	;; [unrolled: 1-line block ×4, first 2 shown]
	v_fma_f64 v[20:21], v[44:45], v[20:21], v[46:47]
	v_fma_f64 v[36:37], v[36:37], v[60:61], v[38:39]
	s_mov_b32 s8, 0x4755a5e
	v_fma_f64 v[38:39], v[40:41], v[104:105], v[42:43]
	v_fma_f64 v[40:41], v[52:53], v[108:109], v[54:55]
	v_fma_f64 v[6:7], v[8:9], v[6:7], -v[80:81]
	v_fma_f64 v[18:19], v[56:57], v[18:19], -v[72:73]
	;; [unrolled: 1-line block ×5, first 2 shown]
	v_fma_f64 v[16:17], v[56:57], v[16:17], v[58:59]
	v_fma_f64 v[46:47], v[48:49], v[100:101], v[50:51]
	;; [unrolled: 1-line block ×5, first 2 shown]
	s_mov_b32 s9, 0xbfe2cf23
	s_mov_b32 s21, 0x3fe2cf23
	;; [unrolled: 1-line block ×4, first 2 shown]
	v_add_f64 v[70:71], v[22:23], -v[62:63]
	v_add_f64 v[42:43], v[62:63], v[64:65]
	v_add_f64 v[44:45], v[22:23], v[66:67]
	v_add_f64 v[58:59], v[22:23], -v[66:67]
	v_add_f64 v[60:61], v[62:63], -v[64:65]
	v_add_f64 v[72:73], v[66:67], -v[64:65]
	v_add_f64 v[28:29], v[36:37], v[38:39]
	v_add_f64 v[30:31], v[20:21], v[40:41]
	v_add_f64 v[32:33], v[20:21], -v[40:41]
	v_add_f64 v[34:35], v[36:37], -v[38:39]
	;; [unrolled: 1-line block ×3, first 2 shown]
	v_add_f64 v[78:79], v[18:19], v[68:69]
	v_add_f64 v[48:49], v[14:15], v[26:27]
	v_add_f64 v[86:87], v[64:65], -v[66:67]
	v_add_f64 v[94:95], v[16:17], v[46:47]
	v_add_f64 v[50:51], v[16:17], -v[46:47]
	v_add_f64 v[92:93], v[12:13], v[24:25]
	v_add_f64 v[88:89], v[2:3], v[18:19]
	v_add_f64 v[96:97], v[16:17], -v[12:13]
	v_add_f64 v[102:103], v[12:13], -v[16:17]
	v_add_f64 v[16:17], v[0:1], v[16:17]
	v_add_f64 v[8:9], v[18:19], -v[14:15]
	v_add_f64 v[10:11], v[68:69], -v[26:27]
	v_fma_f64 v[42:43], v[42:43], -0.5, v[6:7]
	v_fma_f64 v[44:45], v[44:45], -0.5, v[6:7]
	v_add_f64 v[6:7], v[6:7], v[22:23]
	v_add_f64 v[52:53], v[12:13], -v[24:25]
	v_add_f64 v[54:55], v[20:21], -v[36:37]
	v_fma_f64 v[28:29], v[28:29], -0.5, v[4:5]
	v_fma_f64 v[30:31], v[30:31], -0.5, v[4:5]
	v_add_f64 v[4:5], v[4:5], v[20:21]
	v_add_f64 v[56:57], v[40:41], -v[38:39]
	v_add_f64 v[74:75], v[14:15], -v[18:19]
	;; [unrolled: 1-line block ×6, first 2 shown]
	v_fma_f64 v[20:21], v[48:49], -0.5, v[2:3]
	v_fma_f64 v[2:3], v[78:79], -0.5, v[2:3]
	v_add_f64 v[48:49], v[70:71], v[72:73]
	v_add_f64 v[70:71], v[84:85], v[86:87]
	s_mov_b32 s1, 0x3fd3c6ef
	v_add_f64 v[14:15], v[88:89], v[14:15]
	v_add_f64 v[12:13], v[16:17], v[12:13]
	v_add_f64 v[76:77], v[26:27], -v[68:69]
	v_fma_f64 v[22:23], v[32:33], s[2:3], v[42:43]
	v_fma_f64 v[90:91], v[34:35], s[18:19], v[44:45]
	;; [unrolled: 1-line block ×4, first 2 shown]
	v_add_f64 v[6:7], v[6:7], v[62:63]
	v_fma_f64 v[72:73], v[58:59], s[18:19], v[28:29]
	v_fma_f64 v[78:79], v[60:61], s[2:3], v[30:31]
	v_fma_f64 v[30:31], v[60:61], s[18:19], v[30:31]
	v_fma_f64 v[28:29], v[58:59], s[2:3], v[28:29]
	v_add_f64 v[4:5], v[4:5], v[36:37]
	v_add_f64 v[98:99], v[46:47], -v[24:25]
	v_add_f64 v[104:105], v[24:25], -v[46:47]
	v_add_f64 v[8:9], v[8:9], v[10:11]
	v_add_f64 v[10:11], v[54:55], v[56:57]
	;; [unrolled: 1-line block ×3, first 2 shown]
	v_fma_f64 v[16:17], v[50:51], s[2:3], v[20:21]
	v_fma_f64 v[36:37], v[52:53], s[18:19], v[2:3]
	;; [unrolled: 1-line block ×4, first 2 shown]
	s_mov_b32 s10, 0x9b97f4a8
	s_mov_b32 s11, 0xbfe9e377
	;; [unrolled: 1-line block ×3, first 2 shown]
	v_fma_f64 v[22:23], v[34:35], s[8:9], v[22:23]
	v_fma_f64 v[84:85], v[32:33], s[8:9], v[90:91]
	;; [unrolled: 1-line block ×4, first 2 shown]
	v_fma_f64 v[42:43], v[92:93], -0.5, v[0:1]
	v_fma_f64 v[0:1], v[94:95], -0.5, v[0:1]
	v_fma_f64 v[56:57], v[60:61], s[20:21], v[72:73]
	v_fma_f64 v[62:63], v[58:59], s[20:21], v[78:79]
	;; [unrolled: 1-line block ×4, first 2 shown]
	s_mov_b32 s23, 0x3fe9e377
	s_mov_b32 s16, s0
	;; [unrolled: 1-line block ×3, first 2 shown]
	v_add_f64 v[14:15], v[14:15], v[26:27]
	v_add_f64 v[6:7], v[6:7], v[64:65]
	;; [unrolled: 1-line block ×6, first 2 shown]
	v_fma_f64 v[16:17], v[52:53], s[8:9], v[16:17]
	v_fma_f64 v[24:25], v[50:51], s[8:9], v[36:37]
	;; [unrolled: 1-line block ×11, first 2 shown]
	v_add_f64 v[70:71], v[96:97], v[98:99]
	v_fma_f64 v[20:21], v[52:53], s[20:21], v[20:21]
	v_fma_f64 v[26:27], v[10:11], s[0:1], v[56:57]
	;; [unrolled: 1-line block ×5, first 2 shown]
	v_add_f64 v[14:15], v[14:15], v[68:69]
	v_add_f64 v[6:7], v[6:7], v[66:67]
	;; [unrolled: 1-line block ×4, first 2 shown]
	v_fma_f64 v[16:17], v[8:9], s[0:1], v[16:17]
	v_fma_f64 v[24:25], v[44:45], s[0:1], v[24:25]
	;; [unrolled: 1-line block ×3, first 2 shown]
	v_mul_f64 v[28:29], v[22:23], s[10:11]
	v_mul_f64 v[38:39], v[58:59], s[16:17]
	;; [unrolled: 1-line block ×4, first 2 shown]
	v_fma_f64 v[48:49], v[100:101], s[20:21], v[48:49]
	v_fma_f64 v[54:55], v[18:19], s[20:21], v[60:61]
	;; [unrolled: 1-line block ×4, first 2 shown]
	v_mul_f64 v[34:35], v[34:35], s[8:9]
	v_mul_f64 v[32:33], v[32:33], s[2:3]
	;; [unrolled: 1-line block ×4, first 2 shown]
	v_fma_f64 v[8:9], v[8:9], s[0:1], v[20:21]
	v_add_f64 v[2:3], v[14:15], -v[6:7]
	v_add_f64 v[6:7], v[14:15], v[6:7]
	v_fma_f64 v[20:21], v[26:27], s[20:21], v[28:29]
	v_fma_f64 v[28:29], v[36:37], s[18:19], v[38:39]
	;; [unrolled: 1-line block ×12, first 2 shown]
	v_add_f64 v[0:1], v[12:13], -v[4:5]
	v_add_f64 v[4:5], v[12:13], v[4:5]
	v_add_f64 v[26:27], v[16:17], v[20:21]
	v_add_f64 v[14:15], v[24:25], -v[28:29]
	v_add_f64 v[18:19], v[40:41], -v[38:39]
	v_add_f64 v[34:35], v[40:41], v[38:39]
	v_add_f64 v[38:39], v[8:9], v[44:45]
	v_add_f64 v[30:31], v[24:25], v[28:29]
	v_add_f64 v[10:11], v[16:17], -v[20:21]
	v_add_f64 v[22:23], v[8:9], -v[44:45]
	v_add_f64 v[36:37], v[52:53], v[54:55]
	v_add_f64 v[32:33], v[50:51], v[56:57]
	;; [unrolled: 1-line block ×4, first 2 shown]
	v_add_f64 v[20:21], v[52:53], -v[54:55]
	v_add_f64 v[16:17], v[50:51], -v[56:57]
	;; [unrolled: 1-line block ×4, first 2 shown]
	ds_write_b128 v169, v[4:7]
	ds_write_b128 v169, v[0:3] offset:5600
	ds_write_b128 v169, v[36:39] offset:1120
	;; [unrolled: 1-line block ×9, first 2 shown]
.LBB0_21:
	s_or_b32 exec_lo, exec_lo, s24
	s_waitcnt lgkmcnt(0)
	s_barrier
	buffer_gl0_inv
	s_and_b32 exec_lo, exec_lo, vcc_lo
	s_cbranch_execz .LBB0_23
; %bb.22:
	v_add_co_u32 v24, s0, s14, v169
	v_add_co_ci_u32_e64 v25, null, s15, 0, s0
	v_mad_u64_u32 v[48:49], null, s6, v112, 0
	v_add_co_u32 v12, vcc_lo, 0x800, v24
	v_add_co_ci_u32_e32 v13, vcc_lo, 0, v25, vcc_lo
	v_add_co_u32 v20, vcc_lo, 0x1000, v24
	v_add_co_ci_u32_e32 v21, vcc_lo, 0, v25, vcc_lo
	;; [unrolled: 2-line block ×3, first 2 shown]
	v_add_co_u32 v36, vcc_lo, 0x2000, v24
	s_clause 0x5
	global_load_dwordx4 v[0:3], v169, s[14:15]
	global_load_dwordx4 v[4:7], v169, s[14:15] offset:1120
	global_load_dwordx4 v[8:11], v[12:13], off offset:192
	global_load_dwordx4 v[12:15], v[12:13], off offset:1312
	;; [unrolled: 1-line block ×4, first 2 shown]
	v_add_co_ci_u32_e32 v37, vcc_lo, 0, v25, vcc_lo
	s_clause 0x3
	global_load_dwordx4 v[24:27], v[28:29], off offset:576
	global_load_dwordx4 v[28:31], v[28:29], off offset:1696
	;; [unrolled: 1-line block ×4, first 2 shown]
	v_mad_u64_u32 v[50:51], null, s4, v170, 0
	v_mov_b32_e32 v40, v49
	s_mul_i32 s2, s5, 0x460
	s_mul_hi_u32 s3, s4, 0x460
	s_mulk_i32 s4, 0x460
	s_add_i32 s3, s3, s2
	s_mov_b32 s0, 0xe434a9b1
	v_mov_b32_e32 v41, v51
	s_mov_b32 s1, 0x3f5767dc
	v_mad_u64_u32 v[42:43], null, s7, v112, v[40:41]
	v_mov_b32_e32 v49, v42
	v_mad_u64_u32 v[51:52], null, s5, v170, v[41:42]
	ds_read_b128 v[40:43], v169
	ds_read_b128 v[44:47], v169 offset:1120
	v_lshlrev_b64 v[48:49], 4, v[48:49]
	v_lshlrev_b64 v[56:57], 4, v[50:51]
	v_add_co_u32 v58, vcc_lo, s12, v48
	v_add_co_ci_u32_e32 v59, vcc_lo, s13, v49, vcc_lo
	ds_read_b128 v[48:51], v169 offset:2240
	ds_read_b128 v[52:55], v169 offset:3360
	v_add_co_u32 v80, vcc_lo, v58, v56
	v_add_co_ci_u32_e32 v81, vcc_lo, v59, v57, vcc_lo
	ds_read_b128 v[56:59], v169 offset:4480
	ds_read_b128 v[60:63], v169 offset:5600
	;; [unrolled: 1-line block ×6, first 2 shown]
	v_add_co_u32 v82, vcc_lo, v80, s4
	v_add_co_ci_u32_e32 v83, vcc_lo, s3, v81, vcc_lo
	v_add_co_u32 v84, vcc_lo, v82, s4
	v_add_co_ci_u32_e32 v85, vcc_lo, s3, v83, vcc_lo
	;; [unrolled: 2-line block ×5, first 2 shown]
	s_waitcnt vmcnt(9) lgkmcnt(9)
	v_mul_f64 v[90:91], v[42:43], v[2:3]
	v_mul_f64 v[2:3], v[40:41], v[2:3]
	s_waitcnt vmcnt(8) lgkmcnt(8)
	v_mul_f64 v[92:93], v[46:47], v[6:7]
	v_mul_f64 v[6:7], v[44:45], v[6:7]
	;; [unrolled: 3-line block ×10, first 2 shown]
	v_fma_f64 v[40:41], v[40:41], v[0:1], v[90:91]
	v_fma_f64 v[2:3], v[0:1], v[42:43], -v[2:3]
	v_fma_f64 v[42:43], v[44:45], v[4:5], v[92:93]
	v_fma_f64 v[6:7], v[4:5], v[46:47], -v[6:7]
	;; [unrolled: 2-line block ×10, first 2 shown]
	v_add_co_u32 v60, vcc_lo, v110, s4
	v_mul_f64 v[0:1], v[40:41], s[0:1]
	v_mul_f64 v[2:3], v[2:3], s[0:1]
	v_mul_f64 v[4:5], v[42:43], s[0:1]
	v_mul_f64 v[6:7], v[6:7], s[0:1]
	v_mul_f64 v[8:9], v[44:45], s[0:1]
	v_mul_f64 v[10:11], v[10:11], s[0:1]
	v_mul_f64 v[12:13], v[46:47], s[0:1]
	v_mul_f64 v[14:15], v[14:15], s[0:1]
	v_mul_f64 v[16:17], v[48:49], s[0:1]
	v_mul_f64 v[18:19], v[18:19], s[0:1]
	v_mul_f64 v[20:21], v[50:51], s[0:1]
	v_mul_f64 v[22:23], v[22:23], s[0:1]
	v_mul_f64 v[24:25], v[52:53], s[0:1]
	v_mul_f64 v[26:27], v[26:27], s[0:1]
	v_add_co_ci_u32_e32 v61, vcc_lo, s3, v111, vcc_lo
	v_mul_f64 v[28:29], v[54:55], s[0:1]
	v_mul_f64 v[30:31], v[30:31], s[0:1]
	v_mul_f64 v[32:33], v[56:57], s[0:1]
	v_mul_f64 v[34:35], v[34:35], s[0:1]
	v_mul_f64 v[36:37], v[58:59], s[0:1]
	v_mul_f64 v[38:39], v[38:39], s[0:1]
	v_add_co_u32 v40, vcc_lo, v60, s4
	v_add_co_ci_u32_e32 v41, vcc_lo, s3, v61, vcc_lo
	v_add_co_u32 v42, vcc_lo, v40, s4
	v_add_co_ci_u32_e32 v43, vcc_lo, s3, v41, vcc_lo
	;; [unrolled: 2-line block ×3, first 2 shown]
	global_store_dwordx4 v[80:81], v[0:3], off
	global_store_dwordx4 v[82:83], v[4:7], off
	;; [unrolled: 1-line block ×10, first 2 shown]
.LBB0_23:
	s_endpgm
	.section	.rodata,"a",@progbits
	.p2align	6, 0x0
	.amdhsa_kernel bluestein_single_fwd_len700_dim1_dp_op_CI_CI
		.amdhsa_group_segment_fixed_size 11200
		.amdhsa_private_segment_fixed_size 0
		.amdhsa_kernarg_size 104
		.amdhsa_user_sgpr_count 6
		.amdhsa_user_sgpr_private_segment_buffer 1
		.amdhsa_user_sgpr_dispatch_ptr 0
		.amdhsa_user_sgpr_queue_ptr 0
		.amdhsa_user_sgpr_kernarg_segment_ptr 1
		.amdhsa_user_sgpr_dispatch_id 0
		.amdhsa_user_sgpr_flat_scratch_init 0
		.amdhsa_user_sgpr_private_segment_size 0
		.amdhsa_wavefront_size32 1
		.amdhsa_uses_dynamic_stack 0
		.amdhsa_system_sgpr_private_segment_wavefront_offset 0
		.amdhsa_system_sgpr_workgroup_id_x 1
		.amdhsa_system_sgpr_workgroup_id_y 0
		.amdhsa_system_sgpr_workgroup_id_z 0
		.amdhsa_system_sgpr_workgroup_info 0
		.amdhsa_system_vgpr_workitem_id 0
		.amdhsa_next_free_vgpr 207
		.amdhsa_next_free_sgpr 25
		.amdhsa_reserve_vcc 1
		.amdhsa_reserve_flat_scratch 0
		.amdhsa_float_round_mode_32 0
		.amdhsa_float_round_mode_16_64 0
		.amdhsa_float_denorm_mode_32 3
		.amdhsa_float_denorm_mode_16_64 3
		.amdhsa_dx10_clamp 1
		.amdhsa_ieee_mode 1
		.amdhsa_fp16_overflow 0
		.amdhsa_workgroup_processor_mode 1
		.amdhsa_memory_ordered 1
		.amdhsa_forward_progress 0
		.amdhsa_shared_vgpr_count 0
		.amdhsa_exception_fp_ieee_invalid_op 0
		.amdhsa_exception_fp_denorm_src 0
		.amdhsa_exception_fp_ieee_div_zero 0
		.amdhsa_exception_fp_ieee_overflow 0
		.amdhsa_exception_fp_ieee_underflow 0
		.amdhsa_exception_fp_ieee_inexact 0
		.amdhsa_exception_int_div_zero 0
	.end_amdhsa_kernel
	.text
.Lfunc_end0:
	.size	bluestein_single_fwd_len700_dim1_dp_op_CI_CI, .Lfunc_end0-bluestein_single_fwd_len700_dim1_dp_op_CI_CI
                                        ; -- End function
	.section	.AMDGPU.csdata,"",@progbits
; Kernel info:
; codeLenInByte = 12412
; NumSgprs: 27
; NumVgprs: 207
; ScratchSize: 0
; MemoryBound: 0
; FloatMode: 240
; IeeeMode: 1
; LDSByteSize: 11200 bytes/workgroup (compile time only)
; SGPRBlocks: 3
; VGPRBlocks: 25
; NumSGPRsForWavesPerEU: 27
; NumVGPRsForWavesPerEU: 207
; Occupancy: 4
; WaveLimiterHint : 1
; COMPUTE_PGM_RSRC2:SCRATCH_EN: 0
; COMPUTE_PGM_RSRC2:USER_SGPR: 6
; COMPUTE_PGM_RSRC2:TRAP_HANDLER: 0
; COMPUTE_PGM_RSRC2:TGID_X_EN: 1
; COMPUTE_PGM_RSRC2:TGID_Y_EN: 0
; COMPUTE_PGM_RSRC2:TGID_Z_EN: 0
; COMPUTE_PGM_RSRC2:TIDIG_COMP_CNT: 0
	.text
	.p2alignl 6, 3214868480
	.fill 48, 4, 3214868480
	.type	__hip_cuid_fa232ff022012b9f,@object ; @__hip_cuid_fa232ff022012b9f
	.section	.bss,"aw",@nobits
	.globl	__hip_cuid_fa232ff022012b9f
__hip_cuid_fa232ff022012b9f:
	.byte	0                               ; 0x0
	.size	__hip_cuid_fa232ff022012b9f, 1

	.ident	"AMD clang version 19.0.0git (https://github.com/RadeonOpenCompute/llvm-project roc-6.4.0 25133 c7fe45cf4b819c5991fe208aaa96edf142730f1d)"
	.section	".note.GNU-stack","",@progbits
	.addrsig
	.addrsig_sym __hip_cuid_fa232ff022012b9f
	.amdgpu_metadata
---
amdhsa.kernels:
  - .args:
      - .actual_access:  read_only
        .address_space:  global
        .offset:         0
        .size:           8
        .value_kind:     global_buffer
      - .actual_access:  read_only
        .address_space:  global
        .offset:         8
        .size:           8
        .value_kind:     global_buffer
      - .actual_access:  read_only
        .address_space:  global
        .offset:         16
        .size:           8
        .value_kind:     global_buffer
      - .actual_access:  read_only
        .address_space:  global
        .offset:         24
        .size:           8
        .value_kind:     global_buffer
      - .actual_access:  read_only
        .address_space:  global
        .offset:         32
        .size:           8
        .value_kind:     global_buffer
      - .offset:         40
        .size:           8
        .value_kind:     by_value
      - .address_space:  global
        .offset:         48
        .size:           8
        .value_kind:     global_buffer
      - .address_space:  global
        .offset:         56
        .size:           8
        .value_kind:     global_buffer
      - .address_space:  global
        .offset:         64
        .size:           8
        .value_kind:     global_buffer
      - .address_space:  global
        .offset:         72
        .size:           8
        .value_kind:     global_buffer
      - .offset:         80
        .size:           4
        .value_kind:     by_value
      - .address_space:  global
        .offset:         88
        .size:           8
        .value_kind:     global_buffer
      - .address_space:  global
        .offset:         96
        .size:           8
        .value_kind:     global_buffer
    .group_segment_fixed_size: 11200
    .kernarg_segment_align: 8
    .kernarg_segment_size: 104
    .language:       OpenCL C
    .language_version:
      - 2
      - 0
    .max_flat_workgroup_size: 100
    .name:           bluestein_single_fwd_len700_dim1_dp_op_CI_CI
    .private_segment_fixed_size: 0
    .sgpr_count:     27
    .sgpr_spill_count: 0
    .symbol:         bluestein_single_fwd_len700_dim1_dp_op_CI_CI.kd
    .uniform_work_group_size: 1
    .uses_dynamic_stack: false
    .vgpr_count:     207
    .vgpr_spill_count: 0
    .wavefront_size: 32
    .workgroup_processor_mode: 1
amdhsa.target:   amdgcn-amd-amdhsa--gfx1030
amdhsa.version:
  - 1
  - 2
...

	.end_amdgpu_metadata
